;; amdgpu-corpus repo=ROCm/rocFFT kind=compiled arch=gfx906 opt=O3
	.text
	.amdgcn_target "amdgcn-amd-amdhsa--gfx906"
	.amdhsa_code_object_version 6
	.protected	fft_rtc_back_len616_factors_11_7_8_wgs_88_tpt_88_sp_ip_CI_unitstride_sbrr_C2R_dirReg ; -- Begin function fft_rtc_back_len616_factors_11_7_8_wgs_88_tpt_88_sp_ip_CI_unitstride_sbrr_C2R_dirReg
	.globl	fft_rtc_back_len616_factors_11_7_8_wgs_88_tpt_88_sp_ip_CI_unitstride_sbrr_C2R_dirReg
	.p2align	8
	.type	fft_rtc_back_len616_factors_11_7_8_wgs_88_tpt_88_sp_ip_CI_unitstride_sbrr_C2R_dirReg,@function
fft_rtc_back_len616_factors_11_7_8_wgs_88_tpt_88_sp_ip_CI_unitstride_sbrr_C2R_dirReg: ; @fft_rtc_back_len616_factors_11_7_8_wgs_88_tpt_88_sp_ip_CI_unitstride_sbrr_C2R_dirReg
; %bb.0:
	s_load_dwordx2 s[2:3], s[4:5], 0x50
	s_load_dwordx4 s[8:11], s[4:5], 0x0
	s_load_dwordx2 s[12:13], s[4:5], 0x18
	v_mul_u32_u24_e32 v1, 0x2e9, v0
	v_add_u32_sdwa v5, s6, v1 dst_sel:DWORD dst_unused:UNUSED_PAD src0_sel:DWORD src1_sel:WORD_1
	v_mov_b32_e32 v3, 0
	s_waitcnt lgkmcnt(0)
	v_cmp_lt_u64_e64 s[0:1], s[10:11], 2
	v_mov_b32_e32 v1, 0
	v_mov_b32_e32 v6, v3
	s_and_b64 vcc, exec, s[0:1]
	v_mov_b32_e32 v2, 0
	s_cbranch_vccnz .LBB0_8
; %bb.1:
	s_load_dwordx2 s[0:1], s[4:5], 0x10
	s_add_u32 s6, s12, 8
	s_addc_u32 s7, s13, 0
	v_mov_b32_e32 v1, 0
	v_mov_b32_e32 v2, 0
	s_waitcnt lgkmcnt(0)
	s_add_u32 s14, s0, 8
	s_addc_u32 s15, s1, 0
	s_mov_b64 s[16:17], 1
.LBB0_2:                                ; =>This Inner Loop Header: Depth=1
	s_load_dwordx2 s[18:19], s[14:15], 0x0
                                        ; implicit-def: $vgpr7_vgpr8
	s_waitcnt lgkmcnt(0)
	v_or_b32_e32 v4, s19, v6
	v_cmp_ne_u64_e32 vcc, 0, v[3:4]
	s_and_saveexec_b64 s[0:1], vcc
	s_xor_b64 s[20:21], exec, s[0:1]
	s_cbranch_execz .LBB0_4
; %bb.3:                                ;   in Loop: Header=BB0_2 Depth=1
	v_cvt_f32_u32_e32 v4, s18
	v_cvt_f32_u32_e32 v7, s19
	s_sub_u32 s0, 0, s18
	s_subb_u32 s1, 0, s19
	v_mac_f32_e32 v4, 0x4f800000, v7
	v_rcp_f32_e32 v4, v4
	v_mul_f32_e32 v4, 0x5f7ffffc, v4
	v_mul_f32_e32 v7, 0x2f800000, v4
	v_trunc_f32_e32 v7, v7
	v_mac_f32_e32 v4, 0xcf800000, v7
	v_cvt_u32_f32_e32 v7, v7
	v_cvt_u32_f32_e32 v4, v4
	v_mul_lo_u32 v8, s0, v7
	v_mul_hi_u32 v9, s0, v4
	v_mul_lo_u32 v11, s1, v4
	v_mul_lo_u32 v10, s0, v4
	v_add_u32_e32 v8, v9, v8
	v_add_u32_e32 v8, v8, v11
	v_mul_hi_u32 v9, v4, v10
	v_mul_lo_u32 v11, v4, v8
	v_mul_hi_u32 v13, v4, v8
	v_mul_hi_u32 v12, v7, v10
	v_mul_lo_u32 v10, v7, v10
	v_mul_hi_u32 v14, v7, v8
	v_add_co_u32_e32 v9, vcc, v9, v11
	v_addc_co_u32_e32 v11, vcc, 0, v13, vcc
	v_mul_lo_u32 v8, v7, v8
	v_add_co_u32_e32 v9, vcc, v9, v10
	v_addc_co_u32_e32 v9, vcc, v11, v12, vcc
	v_addc_co_u32_e32 v10, vcc, 0, v14, vcc
	v_add_co_u32_e32 v8, vcc, v9, v8
	v_addc_co_u32_e32 v9, vcc, 0, v10, vcc
	v_add_co_u32_e32 v4, vcc, v4, v8
	v_addc_co_u32_e32 v7, vcc, v7, v9, vcc
	v_mul_lo_u32 v8, s0, v7
	v_mul_hi_u32 v9, s0, v4
	v_mul_lo_u32 v10, s1, v4
	v_mul_lo_u32 v11, s0, v4
	v_add_u32_e32 v8, v9, v8
	v_add_u32_e32 v8, v8, v10
	v_mul_lo_u32 v12, v4, v8
	v_mul_hi_u32 v13, v4, v11
	v_mul_hi_u32 v14, v4, v8
	;; [unrolled: 1-line block ×3, first 2 shown]
	v_mul_lo_u32 v11, v7, v11
	v_mul_hi_u32 v9, v7, v8
	v_add_co_u32_e32 v12, vcc, v13, v12
	v_addc_co_u32_e32 v13, vcc, 0, v14, vcc
	v_mul_lo_u32 v8, v7, v8
	v_add_co_u32_e32 v11, vcc, v12, v11
	v_addc_co_u32_e32 v10, vcc, v13, v10, vcc
	v_addc_co_u32_e32 v9, vcc, 0, v9, vcc
	v_add_co_u32_e32 v8, vcc, v10, v8
	v_addc_co_u32_e32 v9, vcc, 0, v9, vcc
	v_add_co_u32_e32 v4, vcc, v4, v8
	v_addc_co_u32_e32 v9, vcc, v7, v9, vcc
	v_mad_u64_u32 v[7:8], s[0:1], v5, v9, 0
	v_mul_hi_u32 v10, v5, v4
	v_add_co_u32_e32 v11, vcc, v10, v7
	v_addc_co_u32_e32 v12, vcc, 0, v8, vcc
	v_mad_u64_u32 v[7:8], s[0:1], v6, v4, 0
	v_mad_u64_u32 v[9:10], s[0:1], v6, v9, 0
	v_add_co_u32_e32 v4, vcc, v11, v7
	v_addc_co_u32_e32 v4, vcc, v12, v8, vcc
	v_addc_co_u32_e32 v7, vcc, 0, v10, vcc
	v_add_co_u32_e32 v4, vcc, v4, v9
	v_addc_co_u32_e32 v9, vcc, 0, v7, vcc
	v_mul_lo_u32 v10, s19, v4
	v_mul_lo_u32 v11, s18, v9
	v_mad_u64_u32 v[7:8], s[0:1], s18, v4, 0
	v_add3_u32 v8, v8, v11, v10
	v_sub_u32_e32 v10, v6, v8
	v_mov_b32_e32 v11, s19
	v_sub_co_u32_e32 v7, vcc, v5, v7
	v_subb_co_u32_e64 v10, s[0:1], v10, v11, vcc
	v_subrev_co_u32_e64 v11, s[0:1], s18, v7
	v_subbrev_co_u32_e64 v10, s[0:1], 0, v10, s[0:1]
	v_cmp_le_u32_e64 s[0:1], s19, v10
	v_cndmask_b32_e64 v12, 0, -1, s[0:1]
	v_cmp_le_u32_e64 s[0:1], s18, v11
	v_cndmask_b32_e64 v11, 0, -1, s[0:1]
	v_cmp_eq_u32_e64 s[0:1], s19, v10
	v_cndmask_b32_e64 v10, v12, v11, s[0:1]
	v_add_co_u32_e64 v11, s[0:1], 2, v4
	v_addc_co_u32_e64 v12, s[0:1], 0, v9, s[0:1]
	v_add_co_u32_e64 v13, s[0:1], 1, v4
	v_addc_co_u32_e64 v14, s[0:1], 0, v9, s[0:1]
	v_subb_co_u32_e32 v8, vcc, v6, v8, vcc
	v_cmp_ne_u32_e64 s[0:1], 0, v10
	v_cmp_le_u32_e32 vcc, s19, v8
	v_cndmask_b32_e64 v10, v14, v12, s[0:1]
	v_cndmask_b32_e64 v12, 0, -1, vcc
	v_cmp_le_u32_e32 vcc, s18, v7
	v_cndmask_b32_e64 v7, 0, -1, vcc
	v_cmp_eq_u32_e32 vcc, s19, v8
	v_cndmask_b32_e32 v7, v12, v7, vcc
	v_cmp_ne_u32_e32 vcc, 0, v7
	v_cndmask_b32_e64 v7, v13, v11, s[0:1]
	v_cndmask_b32_e32 v8, v9, v10, vcc
	v_cndmask_b32_e32 v7, v4, v7, vcc
.LBB0_4:                                ;   in Loop: Header=BB0_2 Depth=1
	s_andn2_saveexec_b64 s[0:1], s[20:21]
	s_cbranch_execz .LBB0_6
; %bb.5:                                ;   in Loop: Header=BB0_2 Depth=1
	v_cvt_f32_u32_e32 v4, s18
	s_sub_i32 s20, 0, s18
	v_rcp_iflag_f32_e32 v4, v4
	v_mul_f32_e32 v4, 0x4f7ffffe, v4
	v_cvt_u32_f32_e32 v4, v4
	v_mul_lo_u32 v7, s20, v4
	v_mul_hi_u32 v7, v4, v7
	v_add_u32_e32 v4, v4, v7
	v_mul_hi_u32 v4, v5, v4
	v_mul_lo_u32 v7, v4, s18
	v_add_u32_e32 v8, 1, v4
	v_sub_u32_e32 v7, v5, v7
	v_subrev_u32_e32 v9, s18, v7
	v_cmp_le_u32_e32 vcc, s18, v7
	v_cndmask_b32_e32 v7, v7, v9, vcc
	v_cndmask_b32_e32 v4, v4, v8, vcc
	v_add_u32_e32 v8, 1, v4
	v_cmp_le_u32_e32 vcc, s18, v7
	v_cndmask_b32_e32 v7, v4, v8, vcc
	v_mov_b32_e32 v8, v3
.LBB0_6:                                ;   in Loop: Header=BB0_2 Depth=1
	s_or_b64 exec, exec, s[0:1]
	v_mul_lo_u32 v4, v8, s18
	v_mul_lo_u32 v11, v7, s19
	v_mad_u64_u32 v[9:10], s[0:1], v7, s18, 0
	s_load_dwordx2 s[0:1], s[6:7], 0x0
	s_add_u32 s16, s16, 1
	v_add3_u32 v4, v10, v11, v4
	v_sub_co_u32_e32 v5, vcc, v5, v9
	v_subb_co_u32_e32 v4, vcc, v6, v4, vcc
	s_waitcnt lgkmcnt(0)
	v_mul_lo_u32 v4, s0, v4
	v_mul_lo_u32 v6, s1, v5
	v_mad_u64_u32 v[1:2], s[0:1], s0, v5, v[1:2]
	s_addc_u32 s17, s17, 0
	s_add_u32 s6, s6, 8
	v_add3_u32 v2, v6, v2, v4
	v_mov_b32_e32 v4, s10
	v_mov_b32_e32 v5, s11
	s_addc_u32 s7, s7, 0
	v_cmp_ge_u64_e32 vcc, s[16:17], v[4:5]
	s_add_u32 s14, s14, 8
	s_addc_u32 s15, s15, 0
	s_cbranch_vccnz .LBB0_9
; %bb.7:                                ;   in Loop: Header=BB0_2 Depth=1
	v_mov_b32_e32 v5, v7
	v_mov_b32_e32 v6, v8
	s_branch .LBB0_2
.LBB0_8:
	v_mov_b32_e32 v8, v6
	v_mov_b32_e32 v7, v5
.LBB0_9:
	s_lshl_b64 s[0:1], s[10:11], 3
	s_add_u32 s0, s12, s0
	s_addc_u32 s1, s13, s1
	s_load_dwordx2 s[6:7], s[0:1], 0x0
	s_load_dwordx2 s[10:11], s[4:5], 0x20
	s_waitcnt lgkmcnt(0)
	v_mad_u64_u32 v[1:2], s[0:1], s6, v7, v[1:2]
	v_mul_lo_u32 v3, s6, v8
	v_mul_lo_u32 v4, s7, v7
	s_mov_b32 s0, 0x2e8ba2f
	v_mul_hi_u32 v5, v0, s0
	v_cmp_gt_u64_e64 s[0:1], s[10:11], v[7:8]
	v_add3_u32 v2, v4, v2, v3
	v_lshlrev_b64 v[26:27], 3, v[1:2]
	v_mul_u32_u24_e32 v3, 0x58, v5
	v_sub_u32_e32 v24, v0, v3
	s_and_saveexec_b64 s[4:5], s[0:1]
	s_cbranch_execz .LBB0_13
; %bb.10:
	v_mov_b32_e32 v25, 0
	v_mov_b32_e32 v0, s3
	v_add_co_u32_e32 v1, vcc, s2, v26
	v_lshlrev_b64 v[2:3], 3, v[24:25]
	v_addc_co_u32_e32 v0, vcc, v0, v27, vcc
	v_add_co_u32_e32 v2, vcc, v1, v2
	v_addc_co_u32_e32 v3, vcc, v0, v3, vcc
	v_add_co_u32_e32 v12, vcc, 0x1000, v2
	global_load_dwordx2 v[4:5], v[2:3], off
	global_load_dwordx2 v[6:7], v[2:3], off offset:704
	global_load_dwordx2 v[8:9], v[2:3], off offset:1408
	global_load_dwordx2 v[10:11], v[2:3], off offset:2112
	v_addc_co_u32_e32 v13, vcc, 0, v3, vcc
	global_load_dwordx2 v[14:15], v[2:3], off offset:2816
	global_load_dwordx2 v[16:17], v[2:3], off offset:3520
	;; [unrolled: 1-line block ×3, first 2 shown]
	s_movk_i32 s6, 0x57
	v_lshl_add_u32 v2, v24, 3, 0
	v_cmp_eq_u32_e32 vcc, s6, v24
	v_add_u32_e32 v3, 0x400, v2
	v_add_u32_e32 v12, 0x800, v2
	s_waitcnt vmcnt(5)
	ds_write2_b64 v2, v[4:5], v[6:7] offset1:88
	s_waitcnt vmcnt(3)
	ds_write2_b64 v3, v[8:9], v[10:11] offset0:48 offset1:136
	s_waitcnt vmcnt(1)
	ds_write2_b64 v12, v[14:15], v[16:17] offset0:96 offset1:184
	s_waitcnt vmcnt(0)
	ds_write_b64 v2, v[18:19] offset:4224
	s_and_saveexec_b64 s[6:7], vcc
	s_cbranch_execz .LBB0_12
; %bb.11:
	v_add_co_u32_e32 v1, vcc, 0x1000, v1
	v_addc_co_u32_e32 v2, vcc, 0, v0, vcc
	global_load_dwordx2 v[0:1], v[1:2], off offset:832
	v_mov_b32_e32 v24, 0x57
	s_waitcnt vmcnt(0)
	ds_write_b64 v25, v[0:1] offset:4928
.LBB0_12:
	s_or_b64 exec, exec, s[6:7]
.LBB0_13:
	s_or_b64 exec, exec, s[4:5]
	v_lshlrev_b32_e32 v0, 3, v24
	v_add_u32_e32 v28, 0, v0
	s_waitcnt lgkmcnt(0)
	s_barrier
	v_sub_u32_e32 v4, 0, v0
	ds_read_b32 v1, v28
	ds_read_b32 v2, v4 offset:4928
	s_add_u32 s6, s8, 0x12e8
	s_addc_u32 s7, s9, 0
	v_cmp_ne_u32_e32 vcc, 0, v24
	s_waitcnt lgkmcnt(0)
	v_add_f32_e32 v0, v2, v1
	v_sub_f32_e32 v1, v1, v2
                                        ; implicit-def: $vgpr2_vgpr3
	s_and_saveexec_b64 s[4:5], vcc
	s_xor_b64 s[4:5], exec, s[4:5]
	s_cbranch_execz .LBB0_15
; %bb.14:
	v_mov_b32_e32 v25, 0
	v_lshlrev_b64 v[2:3], 3, v[24:25]
	v_mov_b32_e32 v5, s7
	v_add_co_u32_e32 v2, vcc, s6, v2
	v_addc_co_u32_e32 v3, vcc, v5, v3, vcc
	global_load_dwordx2 v[2:3], v[2:3], off
	ds_read_b32 v5, v4 offset:4932
	ds_read_b32 v6, v28 offset:4
	s_waitcnt lgkmcnt(0)
	v_add_f32_e32 v9, v5, v6
	v_sub_f32_e32 v5, v6, v5
	s_waitcnt vmcnt(0)
	v_fma_f32 v10, v1, v3, v0
	v_fma_f32 v6, v9, v3, v5
	v_fma_f32 v7, -v1, v3, v0
	v_fma_f32 v8, v9, v3, -v5
	v_fma_f32 v5, -v2, v9, v10
	v_fmac_f32_e32 v6, v1, v2
	v_fmac_f32_e32 v7, v2, v9
	;; [unrolled: 1-line block ×3, first 2 shown]
	v_mov_b32_e32 v2, v24
	ds_write_b64 v28, v[5:6]
	ds_write_b64 v4, v[7:8] offset:4928
	v_mov_b32_e32 v3, v25
                                        ; implicit-def: $vgpr0
.LBB0_15:
	s_andn2_saveexec_b64 s[4:5], s[4:5]
	s_cbranch_execz .LBB0_17
; %bb.16:
	ds_write_b64 v28, v[0:1]
	v_mov_b32_e32 v5, 0
	ds_read_b64 v[0:1], v5 offset:2464
	v_mov_b32_e32 v2, 0
	v_mov_b32_e32 v3, 0
	s_waitcnt lgkmcnt(0)
	v_add_f32_e32 v0, v0, v0
	v_mul_f32_e32 v1, -2.0, v1
	ds_write_b64 v5, v[0:1] offset:2464
.LBB0_17:
	s_or_b64 exec, exec, s[4:5]
	v_lshlrev_b64 v[0:1], 3, v[2:3]
	v_mov_b32_e32 v2, s7
	v_add_co_u32_e32 v0, vcc, s6, v0
	v_addc_co_u32_e32 v1, vcc, v2, v1, vcc
	global_load_dwordx2 v[2:3], v[0:1], off offset:704
	global_load_dwordx2 v[5:6], v[0:1], off offset:1408
	ds_read_b64 v[7:8], v28 offset:704
	ds_read_b64 v[9:10], v4 offset:4224
	v_cmp_gt_u32_e32 vcc, 44, v24
	s_waitcnt lgkmcnt(0)
	v_add_f32_e32 v11, v7, v9
	v_add_f32_e32 v12, v10, v8
	v_sub_f32_e32 v13, v7, v9
	v_sub_f32_e32 v7, v8, v10
	s_waitcnt vmcnt(1)
	v_fma_f32 v14, v13, v3, v11
	v_fma_f32 v8, v12, v3, v7
	v_fma_f32 v9, -v13, v3, v11
	v_fma_f32 v10, v12, v3, -v7
	v_fma_f32 v7, -v2, v12, v14
	v_fmac_f32_e32 v8, v13, v2
	v_fmac_f32_e32 v9, v2, v12
	;; [unrolled: 1-line block ×3, first 2 shown]
	ds_write_b64 v28, v[7:8] offset:704
	ds_write_b64 v4, v[9:10] offset:4224
	ds_read_b64 v[2:3], v28 offset:1408
	ds_read_b64 v[7:8], v4 offset:3520
	s_waitcnt lgkmcnt(0)
	v_add_f32_e32 v9, v2, v7
	v_add_f32_e32 v10, v8, v3
	v_sub_f32_e32 v11, v2, v7
	v_sub_f32_e32 v2, v3, v8
	s_waitcnt vmcnt(0)
	v_fma_f32 v12, v11, v6, v9
	v_fma_f32 v3, v10, v6, v2
	v_fma_f32 v7, -v11, v6, v9
	v_fma_f32 v8, v10, v6, -v2
	v_fma_f32 v2, -v5, v10, v12
	v_fmac_f32_e32 v3, v11, v5
	v_fmac_f32_e32 v7, v5, v10
	;; [unrolled: 1-line block ×3, first 2 shown]
	ds_write_b64 v28, v[2:3] offset:1408
	ds_write_b64 v4, v[7:8] offset:3520
	s_and_saveexec_b64 s[4:5], vcc
	s_cbranch_execz .LBB0_19
; %bb.18:
	global_load_dwordx2 v[0:1], v[0:1], off offset:2112
	ds_read_b64 v[2:3], v28 offset:2112
	ds_read_b64 v[5:6], v4 offset:2816
	s_waitcnt lgkmcnt(0)
	v_add_f32_e32 v7, v2, v5
	v_add_f32_e32 v8, v6, v3
	v_sub_f32_e32 v9, v2, v5
	v_sub_f32_e32 v3, v3, v6
	s_waitcnt vmcnt(0)
	v_fma_f32 v10, v9, v1, v7
	v_fma_f32 v2, v8, v1, v3
	v_fma_f32 v5, -v9, v1, v7
	v_fma_f32 v6, v8, v1, -v3
	v_fma_f32 v1, -v0, v8, v10
	v_fmac_f32_e32 v2, v9, v0
	v_fmac_f32_e32 v5, v0, v8
	;; [unrolled: 1-line block ×3, first 2 shown]
	ds_write_b64 v28, v[1:2] offset:2112
	ds_write_b64 v4, v[5:6] offset:2816
.LBB0_19:
	s_or_b64 exec, exec, s[4:5]
	v_add_u32_e32 v25, 0x800, v28
	s_waitcnt lgkmcnt(0)
	s_barrier
	s_barrier
	ds_read2_b64 v[4:7], v28 offset1:56
	ds_read_b64 v[0:1], v28 offset:4480
	ds_read2_b64 v[20:23], v28 offset0:112 offset1:168
	ds_read2_b64 v[8:11], v25 offset0:192 offset1:248
	s_mov_b32 s6, 0xbf27a4f4
	s_mov_b32 s7, 0xbe11bafb
	s_waitcnt lgkmcnt(2)
	v_sub_f32_e32 v40, v7, v1
	v_add_f32_e32 v30, v0, v6
	v_mul_f32_e32 v50, 0xbf4178ce, v40
	s_waitcnt lgkmcnt(0)
	v_sub_f32_e32 v41, v21, v11
	v_add_f32_e32 v42, v1, v7
	v_fma_f32 v2, v30, s6, -v50
	v_add_f32_e32 v31, v10, v20
	v_mul_f32_e32 v51, 0x3f7d64f0, v41
	v_add_f32_e32 v2, v4, v2
	v_fma_f32 v3, v31, s7, -v51
	v_mul_f32_e32 v53, 0xbf27a4f4, v42
	v_add_f32_e32 v44, v11, v21
	v_sub_f32_e32 v32, v6, v0
	v_add_f32_e32 v2, v3, v2
	v_mov_b32_e32 v3, v53
	v_mul_f32_e32 v54, 0xbe11bafb, v44
	v_fmac_f32_e32 v3, 0xbf4178ce, v32
	v_sub_f32_e32 v34, v20, v10
	v_mov_b32_e32 v12, v54
	v_sub_f32_e32 v43, v23, v9
	v_add_f32_e32 v3, v5, v3
	v_fmac_f32_e32 v12, 0x3f7d64f0, v34
	s_mov_b32 s10, 0x3f575c64
	v_add_f32_e32 v33, v8, v22
	v_mul_f32_e32 v52, 0xbf0a6770, v43
	v_add_f32_e32 v3, v12, v3
	v_fma_f32 v12, v33, s10, -v52
	v_add_u32_e32 v29, 0x400, v28
	v_add_f32_e32 v2, v12, v2
	ds_read2_b64 v[16:19], v29 offset0:96 offset1:152
	ds_read2_b64 v[12:15], v25 offset0:80 offset1:136
	v_add_f32_e32 v46, v9, v23
	v_mul_f32_e32 v55, 0x3f575c64, v46
	v_sub_f32_e32 v35, v22, v8
	v_mov_b32_e32 v36, v55
	v_fmac_f32_e32 v36, 0xbf0a6770, v35
	s_waitcnt lgkmcnt(0)
	v_sub_f32_e32 v45, v17, v15
	v_add_f32_e32 v3, v36, v3
	s_mov_b32 s11, 0xbf75a155
	v_add_f32_e32 v36, v14, v16
	v_mul_f32_e32 v56, 0xbe903f40, v45
	v_add_f32_e32 v49, v15, v17
	v_fma_f32 v37, v36, s11, -v56
	v_mul_f32_e32 v57, 0xbf75a155, v49
	v_add_f32_e32 v2, v37, v2
	v_sub_f32_e32 v37, v16, v14
	v_mov_b32_e32 v38, v57
	v_add_f32_e32 v47, v13, v19
	v_fmac_f32_e32 v38, 0xbe903f40, v37
	v_mul_f32_e32 v59, 0x3ed4b147, v47
	v_sub_f32_e32 v48, v19, v13
	v_add_f32_e32 v3, v38, v3
	s_mov_b32 s12, 0x3ed4b147
	v_sub_f32_e32 v39, v18, v12
	v_mov_b32_e32 v60, v59
	v_add_f32_e32 v38, v12, v18
	v_mul_f32_e32 v58, 0x3f68dda4, v48
	v_fmac_f32_e32 v60, 0x3f68dda4, v39
	v_fma_f32 v61, v38, s12, -v58
	v_add_f32_e32 v2, v61, v2
	v_add_f32_e32 v3, v60, v3
	v_cmp_gt_u32_e32 vcc, 56, v24
	s_barrier
	s_and_saveexec_b64 s[4:5], vcc
	s_cbranch_execz .LBB0_21
; %bb.20:
	v_add_f32_e32 v6, v4, v6
	v_add_f32_e32 v7, v5, v7
	;; [unrolled: 1-line block ×3, first 2 shown]
	v_mul_f32_e32 v20, 0xbe903f40, v32
	v_add_f32_e32 v7, v7, v21
	v_add_f32_e32 v61, v6, v22
	v_mov_b32_e32 v6, v20
	v_mul_f32_e32 v21, 0x3f0a6770, v34
	v_add_f32_e32 v60, v7, v23
	v_fmac_f32_e32 v6, 0xbf75a155, v42
	v_mov_b32_e32 v7, v21
	v_add_f32_e32 v6, v5, v6
	v_fmac_f32_e32 v7, 0x3f575c64, v44
	v_mul_f32_e32 v22, 0xbf4178ce, v35
	v_add_f32_e32 v6, v7, v6
	v_mov_b32_e32 v7, v22
	v_fmac_f32_e32 v7, 0xbf27a4f4, v46
	v_mul_f32_e32 v23, 0x3f68dda4, v37
	v_add_f32_e32 v6, v7, v6
	v_mov_b32_e32 v7, v23
	v_fmac_f32_e32 v7, 0x3ed4b147, v49
	v_mul_f32_e32 v62, 0xbe903f40, v40
	v_add_f32_e32 v6, v7, v6
	v_fma_f32 v7, v30, s11, -v62
	v_mul_f32_e32 v63, 0x3f0a6770, v41
	v_add_f32_e32 v7, v4, v7
	v_fma_f32 v64, v31, s10, -v63
	v_fma_f32 v20, v42, s11, -v20
	v_add_f32_e32 v7, v64, v7
	v_mul_f32_e32 v64, 0xbf4178ce, v43
	v_add_f32_e32 v20, v5, v20
	v_fma_f32 v21, v44, s10, -v21
	v_fma_f32 v65, v33, s6, -v64
	v_add_f32_e32 v20, v21, v20
	v_fma_f32 v21, v46, s6, -v22
	v_add_f32_e32 v7, v65, v7
	v_mul_f32_e32 v65, 0x3f68dda4, v45
	v_add_f32_e32 v20, v21, v20
	v_fma_f32 v21, v49, s12, -v23
	v_fmac_f32_e32 v62, 0xbf75a155, v30
	v_fma_f32 v66, v36, s12, -v65
	v_mul_f32_e32 v67, 0xbf7d64f0, v39
	v_add_f32_e32 v20, v21, v20
	v_add_f32_e32 v21, v4, v62
	v_fmac_f32_e32 v63, 0x3f575c64, v31
	v_add_f32_e32 v66, v66, v7
	v_mov_b32_e32 v7, v67
	v_add_f32_e32 v21, v63, v21
	v_fmac_f32_e32 v64, 0xbf27a4f4, v33
	v_fmac_f32_e32 v7, 0xbe11bafb, v47
	v_mul_f32_e32 v68, 0xbf7d64f0, v48
	v_add_f32_e32 v21, v64, v21
	v_fmac_f32_e32 v65, 0x3ed4b147, v36
	v_add_f32_e32 v7, v7, v6
	v_fma_f32 v6, v38, s7, -v68
	v_add_f32_e32 v22, v65, v21
	v_fma_f32 v21, v47, s7, -v67
	v_fmac_f32_e32 v68, 0xbe11bafb, v38
	v_add_f32_e32 v21, v21, v20
	v_add_f32_e32 v20, v68, v22
	v_mul_f32_e32 v22, 0xbf4178ce, v32
	v_sub_f32_e32 v22, v53, v22
	v_mul_f32_e32 v53, 0xbf27a4f4, v30
	v_mul_f32_e32 v23, 0x3f7d64f0, v34
	v_add_f32_e32 v50, v53, v50
	v_mul_f32_e32 v53, 0xbe11bafb, v31
	v_sub_f32_e32 v23, v54, v23
	v_add_f32_e32 v22, v5, v22
	v_add_f32_e32 v51, v53, v51
	;; [unrolled: 1-line block ×4, first 2 shown]
	v_mul_f32_e32 v23, 0xbf0a6770, v35
	v_add_f32_e32 v50, v51, v50
	v_mul_f32_e32 v51, 0x3f575c64, v33
	v_sub_f32_e32 v23, v55, v23
	v_add_f32_e32 v51, v51, v52
	v_add_f32_e32 v22, v23, v22
	v_mul_f32_e32 v23, 0xbe903f40, v37
	v_add_f32_e32 v50, v51, v50
	v_mul_f32_e32 v51, 0xbf75a155, v36
	v_sub_f32_e32 v23, v57, v23
	v_add_f32_e32 v51, v51, v56
	v_add_f32_e32 v22, v23, v22
	v_mul_f32_e32 v23, 0x3f68dda4, v39
	v_add_f32_e32 v50, v51, v50
	v_mul_f32_e32 v51, 0x3ed4b147, v38
	v_add_f32_e32 v16, v61, v16
	v_sub_f32_e32 v23, v59, v23
	v_add_f32_e32 v51, v51, v58
	v_add_f32_e32 v17, v60, v17
	;; [unrolled: 1-line block ×3, first 2 shown]
	v_mul_f32_e32 v18, 0xbe11bafb, v42
	v_add_f32_e32 v23, v23, v22
	v_add_f32_e32 v22, v51, v50
	;; [unrolled: 1-line block ×3, first 2 shown]
	v_mov_b32_e32 v19, v18
	v_mul_f32_e32 v50, 0xbf75a155, v44
	v_fmac_f32_e32 v19, 0x3f7d64f0, v32
	v_mov_b32_e32 v51, v50
	v_add_f32_e32 v19, v5, v19
	v_fmac_f32_e32 v51, 0xbe903f40, v34
	v_add_f32_e32 v19, v51, v19
	v_mul_f32_e32 v51, 0x3ed4b147, v46
	v_add_f32_e32 v12, v16, v12
	v_mov_b32_e32 v52, v51
	v_add_f32_e32 v13, v17, v13
	v_add_f32_e32 v12, v12, v14
	v_mul_f32_e32 v14, 0x3f575c64, v49
	v_fmac_f32_e32 v52, 0xbf68dda4, v35
	v_add_f32_e32 v13, v13, v15
	v_mov_b32_e32 v15, v14
	v_add_f32_e32 v19, v52, v19
	v_fmac_f32_e32 v15, 0x3f0a6770, v37
	v_mul_f32_e32 v17, 0xbf7d64f0, v40
	v_add_f32_e32 v15, v15, v19
	v_mov_b32_e32 v19, v17
	v_add_f32_e32 v9, v13, v9
	v_mul_f32_e32 v52, 0x3e903f40, v41
	v_fmac_f32_e32 v19, 0xbe11bafb, v30
	v_add_f32_e32 v11, v9, v11
	v_mov_b32_e32 v9, v52
	v_add_f32_e32 v19, v4, v19
	v_fmac_f32_e32 v9, 0xbf75a155, v31
	v_add_f32_e32 v8, v12, v8
	v_add_f32_e32 v9, v9, v19
	v_mul_f32_e32 v19, 0x3f68dda4, v43
	v_add_f32_e32 v8, v8, v10
	v_mov_b32_e32 v10, v19
	v_mul_f32_e32 v16, 0xbf27a4f4, v47
	v_fmac_f32_e32 v10, 0x3ed4b147, v33
	v_add_f32_e32 v10, v10, v9
	v_mov_b32_e32 v9, v16
	v_fmac_f32_e32 v9, 0x3f4178ce, v39
	v_add_f32_e32 v9, v9, v15
	v_mul_f32_e32 v15, 0xbf0a6770, v45
	v_add_f32_e32 v0, v8, v0
	v_mov_b32_e32 v8, v15
	v_fmac_f32_e32 v8, 0x3f575c64, v36
	v_mul_f32_e32 v53, 0xbf4178ce, v48
	v_add_f32_e32 v8, v8, v10
	v_mov_b32_e32 v10, v53
	v_fmac_f32_e32 v10, 0xbf27a4f4, v38
	v_mul_f32_e32 v54, 0x3ed4b147, v42
	v_add_f32_e32 v8, v10, v8
	v_mov_b32_e32 v10, v54
	v_mul_f32_e32 v55, 0xbf27a4f4, v44
	v_add_f32_e32 v1, v11, v1
	v_fmac_f32_e32 v10, 0x3f68dda4, v32
	v_mov_b32_e32 v11, v55
	v_add_f32_e32 v10, v5, v10
	v_fmac_f32_e32 v11, 0x3f4178ce, v34
	v_mul_f32_e32 v56, 0xbf75a155, v46
	v_add_f32_e32 v10, v11, v10
	v_mov_b32_e32 v11, v56
	v_fmac_f32_e32 v11, 0xbe903f40, v35
	v_mul_f32_e32 v57, 0xbe11bafb, v49
	v_add_f32_e32 v10, v11, v10
	v_mov_b32_e32 v11, v57
	;; [unrolled: 4-line block ×3, first 2 shown]
	v_mul_f32_e32 v59, 0xbf4178ce, v41
	v_fmac_f32_e32 v11, 0x3ed4b147, v30
	v_mov_b32_e32 v12, v59
	v_add_f32_e32 v11, v4, v11
	v_fmac_f32_e32 v12, 0xbf27a4f4, v31
	v_mul_f32_e32 v60, 0x3e903f40, v43
	v_add_f32_e32 v11, v12, v11
	v_mov_b32_e32 v12, v60
	v_fmac_f32_e32 v12, 0xbf75a155, v33
	v_mul_f32_e32 v61, 0x3f7d64f0, v45
	v_add_f32_e32 v11, v12, v11
	v_mov_b32_e32 v12, v61
	;; [unrolled: 4-line block ×4, first 2 shown]
	v_fmac_f32_e32 v10, 0x3f575c64, v38
	v_mul_f32_e32 v42, 0x3f575c64, v42
	v_fmac_f32_e32 v18, 0xbf7d64f0, v32
	v_add_f32_e32 v10, v10, v12
	v_mov_b32_e32 v12, v42
	v_mul_f32_e32 v44, 0x3ed4b147, v44
	v_add_f32_e32 v18, v5, v18
	v_fmac_f32_e32 v50, 0x3e903f40, v34
	v_fmac_f32_e32 v12, 0x3f0a6770, v32
	v_mov_b32_e32 v13, v44
	v_add_f32_e32 v18, v50, v18
	v_fmac_f32_e32 v51, 0x3f68dda4, v35
	v_add_f32_e32 v12, v5, v12
	v_fmac_f32_e32 v13, 0x3f68dda4, v34
	v_mul_f32_e32 v46, 0xbe11bafb, v46
	v_add_f32_e32 v18, v51, v18
	v_fmac_f32_e32 v14, 0xbf0a6770, v37
	v_fma_f32 v17, v30, s7, -v17
	v_add_f32_e32 v12, v13, v12
	v_mov_b32_e32 v13, v46
	v_add_f32_e32 v14, v14, v18
	v_add_f32_e32 v17, v4, v17
	v_fma_f32 v18, v31, s11, -v52
	v_fmac_f32_e32 v13, 0x3f7d64f0, v35
	v_mul_f32_e32 v49, 0xbf27a4f4, v49
	v_add_f32_e32 v17, v18, v17
	v_fma_f32 v18, v33, s12, -v19
	v_add_f32_e32 v12, v13, v12
	v_mov_b32_e32 v13, v49
	v_add_f32_e32 v17, v18, v17
	v_fma_f32 v15, v36, s10, -v15
	v_fmac_f32_e32 v16, 0xbf4178ce, v39
	v_fmac_f32_e32 v54, 0xbf68dda4, v32
	;; [unrolled: 1-line block ×3, first 2 shown]
	v_mul_f32_e32 v40, 0xbf0a6770, v40
	v_add_f32_e32 v17, v15, v17
	v_add_f32_e32 v15, v16, v14
	;; [unrolled: 1-line block ×3, first 2 shown]
	v_fmac_f32_e32 v55, 0xbf4178ce, v34
	v_add_f32_e32 v12, v13, v12
	v_mov_b32_e32 v13, v40
	v_mul_f32_e32 v41, 0xbf68dda4, v41
	v_fma_f32 v14, v38, s6, -v53
	v_add_f32_e32 v16, v55, v16
	v_fmac_f32_e32 v56, 0x3e903f40, v35
	v_fmac_f32_e32 v13, 0x3f575c64, v30
	v_mov_b32_e32 v64, v41
	v_add_f32_e32 v14, v14, v17
	v_add_f32_e32 v16, v56, v16
	v_fmac_f32_e32 v57, 0x3f7d64f0, v37
	v_fma_f32 v17, v30, s12, -v58
	v_add_f32_e32 v13, v4, v13
	v_fmac_f32_e32 v64, 0x3ed4b147, v31
	v_mul_f32_e32 v43, 0xbf7d64f0, v43
	v_add_f32_e32 v16, v57, v16
	v_add_f32_e32 v17, v4, v17
	v_fma_f32 v18, v31, s6, -v59
	v_fmac_f32_e32 v62, 0x3f0a6770, v39
	v_add_f32_e32 v13, v64, v13
	v_mov_b32_e32 v64, v43
	v_add_f32_e32 v18, v18, v17
	v_add_f32_e32 v17, v62, v16
	v_fma_f32 v16, v33, s11, -v60
	v_fmac_f32_e32 v64, 0xbe11bafb, v33
	v_mul_f32_e32 v45, 0xbf4178ce, v45
	v_add_f32_e32 v16, v16, v18
	v_fma_f32 v18, v36, s7, -v61
	v_add_f32_e32 v13, v64, v13
	v_mov_b32_e32 v64, v45
	v_add_f32_e32 v16, v18, v16
	v_fma_f32 v18, v38, s10, -v63
	v_fmac_f32_e32 v64, 0xbf27a4f4, v36
	v_mul_f32_e32 v47, 0xbf75a155, v47
	v_add_f32_e32 v16, v18, v16
	v_fma_f32 v18, v30, s10, -v40
	v_add_f32_e32 v64, v64, v13
	v_mov_b32_e32 v13, v47
	v_fmac_f32_e32 v42, 0xbf0a6770, v32
	v_add_f32_e32 v4, v4, v18
	v_fma_f32 v18, v31, s12, -v41
	v_fmac_f32_e32 v13, 0x3e903f40, v39
	v_mul_f32_e32 v48, 0xbe903f40, v48
	v_add_f32_e32 v5, v5, v42
	v_fmac_f32_e32 v44, 0xbf68dda4, v34
	v_add_f32_e32 v4, v18, v4
	v_fma_f32 v18, v33, s7, -v43
	v_add_f32_e32 v13, v13, v12
	v_mov_b32_e32 v12, v48
	v_add_f32_e32 v5, v44, v5
	v_fmac_f32_e32 v46, 0xbf7d64f0, v35
	v_add_f32_e32 v4, v18, v4
	v_fma_f32 v18, v36, s6, -v45
	v_fmac_f32_e32 v12, 0xbf75a155, v38
	v_add_f32_e32 v5, v46, v5
	v_fmac_f32_e32 v49, 0xbf4178ce, v37
	v_add_f32_e32 v4, v18, v4
	v_fma_f32 v18, v38, s11, -v48
	s_movk_i32 s6, 0x50
	v_add_f32_e32 v12, v12, v64
	v_add_f32_e32 v5, v49, v5
	v_fmac_f32_e32 v47, 0xbe903f40, v39
	v_add_f32_e32 v4, v18, v4
	v_mad_u32_u24 v18, v24, s6, v28
	v_add_f32_e32 v6, v6, v66
	v_add_f32_e32 v5, v47, v5
	ds_write2_b64 v18, v[0:1], v[12:13] offset1:1
	ds_write2_b64 v18, v[10:11], v[8:9] offset0:2 offset1:3
	ds_write2_b64 v18, v[22:23], v[20:21] offset0:4 offset1:5
	;; [unrolled: 1-line block ×4, first 2 shown]
	ds_write_b64 v18, v[4:5] offset:80
.LBB0_21:
	s_or_b64 exec, exec, s[4:5]
	s_movk_i32 s4, 0x75
	v_mul_lo_u16_sdwa v0, v24, s4 dst_sel:DWORD dst_unused:UNUSED_PAD src0_sel:BYTE_0 src1_sel:DWORD
	v_sub_u16_sdwa v1, v24, v0 dst_sel:DWORD dst_unused:UNUSED_PAD src0_sel:DWORD src1_sel:BYTE_1
	v_lshrrev_b16_e32 v1, 1, v1
	v_and_b32_e32 v1, 0x7f, v1
	v_add_u16_sdwa v0, v1, v0 dst_sel:DWORD dst_unused:UNUSED_PAD src0_sel:DWORD src1_sel:BYTE_1
	v_lshrrev_b16_e32 v33, 3, v0
	v_mul_lo_u16_e32 v0, 11, v33
	v_sub_u16_e32 v34, v24, v0
	v_mov_b32_e32 v0, 6
	v_mul_u32_u24_sdwa v0, v34, v0 dst_sel:DWORD dst_unused:UNUSED_PAD src0_sel:BYTE_0 src1_sel:DWORD
	v_lshlrev_b32_e32 v0, 3, v0
	s_waitcnt lgkmcnt(0)
	s_barrier
	global_load_dwordx4 v[4:7], v0, s[8:9]
	global_load_dwordx4 v[8:11], v0, s[8:9] offset:16
	global_load_dwordx4 v[12:15], v0, s[8:9] offset:32
	ds_read2_b64 v[16:19], v28 offset1:88
	ds_read2_b64 v[20:23], v29 offset0:48 offset1:136
	ds_read2_b64 v[29:32], v25 offset0:96 offset1:184
	ds_read_b64 v[0:1], v28 offset:4224
	s_mov_b32 s4, 0xbf5ff5aa
	s_mov_b32 s5, 0x3f3bfb3b
	s_mov_b32 s6, 0xbf3bfb3b
	s_waitcnt vmcnt(0) lgkmcnt(0)
	s_barrier
	v_mul_f32_e32 v25, v5, v19
	v_mul_f32_e32 v5, v5, v18
	;; [unrolled: 1-line block ×12, first 2 shown]
	v_fmac_f32_e32 v25, v4, v18
	v_fma_f32 v4, v4, v19, -v5
	v_fmac_f32_e32 v35, v6, v20
	v_fmac_f32_e32 v38, v12, v31
	;; [unrolled: 1-line block ×3, first 2 shown]
	v_fma_f32 v0, v14, v1, -v15
	v_fma_f32 v5, v6, v21, -v7
	v_fmac_f32_e32 v36, v8, v22
	v_fma_f32 v6, v8, v23, -v9
	v_fmac_f32_e32 v37, v10, v29
	v_fma_f32 v7, v10, v30, -v11
	v_fma_f32 v8, v12, v32, -v13
	v_add_f32_e32 v1, v25, v39
	v_add_f32_e32 v9, v4, v0
	v_sub_f32_e32 v0, v4, v0
	v_add_f32_e32 v4, v35, v38
	v_add_f32_e32 v11, v5, v8
	v_sub_f32_e32 v12, v35, v38
	v_sub_f32_e32 v5, v5, v8
	v_add_f32_e32 v8, v36, v37
	v_add_f32_e32 v13, v6, v7
	v_sub_f32_e32 v14, v37, v36
	v_sub_f32_e32 v6, v7, v6
	v_add_f32_e32 v7, v4, v1
	v_sub_f32_e32 v10, v25, v39
	v_add_f32_e32 v15, v11, v9
	v_sub_f32_e32 v18, v4, v1
	v_sub_f32_e32 v20, v8, v4
	v_add_f32_e32 v4, v14, v12
	v_add_f32_e32 v7, v8, v7
	v_sub_f32_e32 v19, v11, v9
	v_sub_f32_e32 v1, v1, v8
	;; [unrolled: 1-line block ×4, first 2 shown]
	v_add_f32_e32 v21, v6, v5
	v_sub_f32_e32 v22, v14, v12
	v_sub_f32_e32 v23, v6, v5
	;; [unrolled: 1-line block ×4, first 2 shown]
	v_add_f32_e32 v8, v13, v15
	v_add_f32_e32 v10, v4, v10
	;; [unrolled: 1-line block ×3, first 2 shown]
	v_sub_f32_e32 v6, v0, v6
	v_sub_f32_e32 v25, v5, v0
	v_add_f32_e32 v0, v21, v0
	v_mul_f32_e32 v1, 0x3f4a47b2, v1
	v_mul_f32_e32 v9, 0x3f4a47b2, v9
	;; [unrolled: 1-line block ×6, first 2 shown]
	v_add_f32_e32 v5, v8, v17
	v_mov_b32_e32 v17, v4
	v_mul_f32_e32 v23, 0xbf5ff5aa, v12
	v_fma_f32 v13, v18, s5, -v13
	v_fma_f32 v15, v19, s5, -v15
	;; [unrolled: 1-line block ×3, first 2 shown]
	v_mov_b32_e32 v18, v5
	v_fmac_f32_e32 v17, 0xbf955555, v7
	v_fma_f32 v7, v19, s6, -v9
	v_fma_f32 v19, v12, s4, -v21
	;; [unrolled: 1-line block ×3, first 2 shown]
	s_mov_b32 s4, 0x3eae86e6
	v_mul_f32_e32 v29, 0xbf5ff5aa, v25
	v_fmac_f32_e32 v1, 0x3d64c772, v20
	v_fmac_f32_e32 v18, 0xbf955555, v8
	v_fma_f32 v20, v14, s4, -v23
	v_fmac_f32_e32 v9, 0x3d64c772, v11
	v_fmac_f32_e32 v21, 0xbeae86e6, v14
	v_fma_f32 v14, v6, s4, -v29
	v_add_f32_e32 v1, v1, v17
	v_add_f32_e32 v13, v13, v17
	;; [unrolled: 1-line block ×5, first 2 shown]
	v_fmac_f32_e32 v19, 0xbee1c552, v10
	v_fmac_f32_e32 v12, 0xbee1c552, v0
	v_fmac_f32_e32 v20, 0xbee1c552, v10
	v_fmac_f32_e32 v22, 0xbeae86e6, v6
	v_add_f32_e32 v23, v9, v18
	v_fmac_f32_e32 v21, 0xbee1c552, v10
	v_fmac_f32_e32 v14, 0xbee1c552, v0
	v_sub_f32_e32 v9, v17, v20
	v_sub_f32_e32 v10, v13, v12
	v_add_f32_e32 v11, v19, v15
	v_add_f32_e32 v12, v12, v13
	v_sub_f32_e32 v13, v15, v19
	v_add_f32_e32 v15, v20, v17
	v_mov_b32_e32 v17, 3
	v_fmac_f32_e32 v22, 0xbee1c552, v0
	v_add_f32_e32 v8, v14, v16
	v_sub_f32_e32 v14, v16, v14
	v_mul_u32_u24_e32 v16, 0x268, v33
	v_lshlrev_b32_sdwa v17, v17, v34 dst_sel:DWORD dst_unused:UNUSED_PAD src0_sel:DWORD src1_sel:BYTE_0
	s_movk_i32 s4, 0x4d
	v_add_f32_e32 v6, v22, v1
	v_sub_f32_e32 v7, v23, v21
	v_sub_f32_e32 v0, v1, v22
	v_add_f32_e32 v1, v21, v23
	v_add3_u32 v16, 0, v16, v17
	v_cmp_gt_u32_e32 vcc, s4, v24
	ds_write2_b64 v16, v[4:5], v[6:7] offset1:11
	ds_write2_b64 v16, v[8:9], v[10:11] offset0:22 offset1:33
	ds_write2_b64 v16, v[12:13], v[14:15] offset0:44 offset1:55
	ds_write_b64 v16, v[0:1] offset:528
	s_waitcnt lgkmcnt(0)
	s_barrier
	s_and_saveexec_b64 s[4:5], vcc
	s_cbranch_execz .LBB0_23
; %bb.22:
	v_add_u32_e32 v0, 0x800, v28
	ds_read2_b64 v[4:7], v28 offset1:77
	ds_read2_b64 v[8:11], v28 offset0:154 offset1:231
	ds_read2_b64 v[12:15], v0 offset0:52 offset1:129
	v_add_u32_e32 v0, 0xc00, v28
	ds_read2_b64 v[0:3], v0 offset0:78 offset1:155
.LBB0_23:
	s_or_b64 exec, exec, s[4:5]
	s_waitcnt lgkmcnt(0)
	s_barrier
	s_and_saveexec_b64 s[4:5], vcc
	s_cbranch_execz .LBB0_25
; %bb.24:
	v_add_u32_e32 v16, 0xffffffb3, v24
	v_cndmask_b32_e32 v16, v16, v24, vcc
	v_mul_i32_i24_e32 v16, 7, v16
	v_mov_b32_e32 v17, 0
	v_lshlrev_b64 v[16:17], 3, v[16:17]
	v_mov_b32_e32 v18, s9
	v_add_co_u32_e32 v33, vcc, s8, v16
	v_addc_co_u32_e32 v34, vcc, v18, v17, vcc
	global_load_dwordx4 v[16:19], v[33:34], off offset:544
	global_load_dwordx4 v[20:23], v[33:34], off offset:528
	;; [unrolled: 1-line block ×3, first 2 shown]
	global_load_dwordx2 v[35:36], v[33:34], off offset:576
	s_waitcnt vmcnt(3)
	v_mul_f32_e32 v25, v12, v19
	s_waitcnt vmcnt(2)
	v_mul_f32_e32 v33, v9, v23
	;; [unrolled: 2-line block ×3, first 2 shown]
	v_mul_f32_e32 v37, v6, v21
	v_mul_f32_e32 v38, v14, v30
	;; [unrolled: 1-line block ×3, first 2 shown]
	s_waitcnt vmcnt(0)
	v_mul_f32_e32 v40, v3, v36
	v_mul_f32_e32 v21, v7, v21
	;; [unrolled: 1-line block ×5, first 2 shown]
	v_fma_f32 v13, v13, v18, -v25
	v_fmac_f32_e32 v33, v8, v22
	v_fmac_f32_e32 v34, v0, v31
	v_mul_f32_e32 v17, v10, v17
	v_mul_f32_e32 v36, v2, v36
	;; [unrolled: 1-line block ×3, first 2 shown]
	v_fma_f32 v0, v7, v20, -v37
	v_fma_f32 v7, v15, v29, -v38
	v_fmac_f32_e32 v39, v10, v16
	v_fmac_f32_e32 v40, v2, v35
	;; [unrolled: 1-line block ×3, first 2 shown]
	v_fma_f32 v6, v9, v22, -v23
	v_fma_f32 v1, v1, v31, -v32
	v_sub_f32_e32 v8, v5, v13
	v_sub_f32_e32 v9, v33, v34
	v_fma_f32 v2, v11, v16, -v17
	v_fma_f32 v3, v3, v35, -v36
	v_fmac_f32_e32 v30, v14, v29
	v_fmac_f32_e32 v19, v12, v18
	v_sub_f32_e32 v7, v0, v7
	v_sub_f32_e32 v10, v39, v40
	;; [unrolled: 1-line block ×8, first 2 shown]
	v_fma_f32 v17, v5, 2.0, -v8
	v_fma_f32 v5, v6, 2.0, -v1
	;; [unrolled: 1-line block ×3, first 2 shown]
	v_add_f32_e32 v15, v11, v3
	v_add_f32_e32 v16, v12, v1
	v_sub_f32_e32 v19, v17, v5
	v_fma_f32 v22, v7, 2.0, -v14
	v_mov_b32_e32 v5, v8
	v_fma_f32 v18, v21, 2.0, -v11
	v_fma_f32 v6, v39, 2.0, -v10
	;; [unrolled: 1-line block ×6, first 2 shown]
	v_mov_b32_e32 v1, v13
	v_fma_f32 v23, v11, 2.0, -v15
	v_fma_f32 v12, v12, 2.0, -v16
	v_fmac_f32_e32 v5, 0xbf3504f3, v22
	v_mov_b32_e32 v0, v16
	v_sub_f32_e32 v20, v18, v6
	v_sub_f32_e32 v6, v10, v4
	;; [unrolled: 1-line block ×3, first 2 shown]
	v_fmac_f32_e32 v1, 0x3f3504f3, v14
	v_mov_b32_e32 v4, v12
	v_fmac_f32_e32 v5, 0xbf3504f3, v23
	v_fmac_f32_e32 v0, 0x3f3504f3, v15
	v_add_f32_e32 v2, v6, v21
	v_fma_f32 v17, v17, 2.0, -v19
	v_fma_f32 v9, v9, 2.0, -v21
	;; [unrolled: 1-line block ×3, first 2 shown]
	v_fmac_f32_e32 v1, 0xbf3504f3, v15
	v_fmac_f32_e32 v4, 0xbf3504f3, v23
	v_fma_f32 v15, v8, 2.0, -v5
	v_fma_f32 v8, v18, 2.0, -v20
	v_sub_f32_e32 v9, v17, v9
	v_fmac_f32_e32 v4, 0x3f3504f3, v22
	v_sub_f32_e32 v8, v21, v8
	v_sub_f32_e32 v3, v19, v20
	v_fmac_f32_e32 v0, 0x3f3504f3, v14
	v_fma_f32 v6, v6, 2.0, -v2
	v_fma_f32 v11, v13, 2.0, -v1
	v_fma_f32 v13, v17, 2.0, -v9
	v_fma_f32 v14, v12, 2.0, -v4
	v_fma_f32 v12, v21, 2.0, -v8
	v_fma_f32 v7, v19, 2.0, -v3
	v_fma_f32 v10, v16, 2.0, -v0
	ds_write2_b64 v28, v[12:13], v[14:15] offset1:77
	ds_write2_b64 v28, v[6:7], v[10:11] offset0:154 offset1:231
	v_add_u32_e32 v6, 0x800, v28
	ds_write2_b64 v6, v[8:9], v[4:5] offset0:52 offset1:129
	v_add_u32_e32 v4, 0xc00, v28
	ds_write2_b64 v4, v[2:3], v[0:1] offset0:78 offset1:155
.LBB0_25:
	s_or_b64 exec, exec, s[4:5]
	s_waitcnt lgkmcnt(0)
	s_barrier
	s_and_saveexec_b64 s[4:5], s[0:1]
	s_cbranch_execz .LBB0_27
; %bb.26:
	v_lshl_add_u32 v6, v24, 3, 0
	v_mov_b32_e32 v25, 0
	ds_read2_b64 v[0:3], v6 offset1:88
	v_mov_b32_e32 v4, s3
	v_add_co_u32_e32 v7, vcc, s2, v26
	v_addc_co_u32_e32 v8, vcc, v4, v27, vcc
	v_lshlrev_b64 v[4:5], 3, v[24:25]
	v_add_co_u32_e32 v4, vcc, v7, v4
	v_addc_co_u32_e32 v5, vcc, v8, v5, vcc
	s_waitcnt lgkmcnt(0)
	global_store_dwordx2 v[4:5], v[0:1], off
	v_add_u32_e32 v0, 0x58, v24
	v_mov_b32_e32 v1, v25
	v_lshlrev_b64 v[0:1], 3, v[0:1]
	v_add_u32_e32 v4, 0xb0, v24
	v_add_co_u32_e32 v0, vcc, v7, v0
	v_addc_co_u32_e32 v1, vcc, v8, v1, vcc
	global_store_dwordx2 v[0:1], v[2:3], off
	v_add_u32_e32 v0, 0x400, v6
	v_mov_b32_e32 v5, v25
	ds_read2_b64 v[0:3], v0 offset0:48 offset1:136
	v_lshlrev_b64 v[4:5], 3, v[4:5]
	v_add_co_u32_e32 v4, vcc, v7, v4
	v_addc_co_u32_e32 v5, vcc, v8, v5, vcc
	s_waitcnt lgkmcnt(0)
	global_store_dwordx2 v[4:5], v[0:1], off
	v_add_u32_e32 v0, 0x108, v24
	v_mov_b32_e32 v1, v25
	v_lshlrev_b64 v[0:1], 3, v[0:1]
	v_add_u32_e32 v4, 0x160, v24
	v_add_co_u32_e32 v0, vcc, v7, v0
	v_addc_co_u32_e32 v1, vcc, v8, v1, vcc
	global_store_dwordx2 v[0:1], v[2:3], off
	v_add_u32_e32 v0, 0x800, v6
	v_mov_b32_e32 v5, v25
	ds_read2_b64 v[0:3], v0 offset0:96 offset1:184
	v_lshlrev_b64 v[4:5], 3, v[4:5]
	v_add_co_u32_e32 v4, vcc, v7, v4
	v_addc_co_u32_e32 v5, vcc, v8, v5, vcc
	s_waitcnt lgkmcnt(0)
	global_store_dwordx2 v[4:5], v[0:1], off
	v_add_u32_e32 v0, 0x1b8, v24
	v_mov_b32_e32 v1, v25
	v_lshlrev_b64 v[0:1], 3, v[0:1]
	v_add_u32_e32 v24, 0x210, v24
	v_add_co_u32_e32 v0, vcc, v7, v0
	v_addc_co_u32_e32 v1, vcc, v8, v1, vcc
	global_store_dwordx2 v[0:1], v[2:3], off
	ds_read_b64 v[0:1], v6 offset:4224
	v_lshlrev_b64 v[2:3], 3, v[24:25]
	v_add_co_u32_e32 v2, vcc, v7, v2
	v_addc_co_u32_e32 v3, vcc, v8, v3, vcc
	s_waitcnt lgkmcnt(0)
	global_store_dwordx2 v[2:3], v[0:1], off
.LBB0_27:
	s_endpgm
	.section	.rodata,"a",@progbits
	.p2align	6, 0x0
	.amdhsa_kernel fft_rtc_back_len616_factors_11_7_8_wgs_88_tpt_88_sp_ip_CI_unitstride_sbrr_C2R_dirReg
		.amdhsa_group_segment_fixed_size 0
		.amdhsa_private_segment_fixed_size 0
		.amdhsa_kernarg_size 88
		.amdhsa_user_sgpr_count 6
		.amdhsa_user_sgpr_private_segment_buffer 1
		.amdhsa_user_sgpr_dispatch_ptr 0
		.amdhsa_user_sgpr_queue_ptr 0
		.amdhsa_user_sgpr_kernarg_segment_ptr 1
		.amdhsa_user_sgpr_dispatch_id 0
		.amdhsa_user_sgpr_flat_scratch_init 0
		.amdhsa_user_sgpr_private_segment_size 0
		.amdhsa_uses_dynamic_stack 0
		.amdhsa_system_sgpr_private_segment_wavefront_offset 0
		.amdhsa_system_sgpr_workgroup_id_x 1
		.amdhsa_system_sgpr_workgroup_id_y 0
		.amdhsa_system_sgpr_workgroup_id_z 0
		.amdhsa_system_sgpr_workgroup_info 0
		.amdhsa_system_vgpr_workitem_id 0
		.amdhsa_next_free_vgpr 69
		.amdhsa_next_free_sgpr 22
		.amdhsa_reserve_vcc 1
		.amdhsa_reserve_flat_scratch 0
		.amdhsa_float_round_mode_32 0
		.amdhsa_float_round_mode_16_64 0
		.amdhsa_float_denorm_mode_32 3
		.amdhsa_float_denorm_mode_16_64 3
		.amdhsa_dx10_clamp 1
		.amdhsa_ieee_mode 1
		.amdhsa_fp16_overflow 0
		.amdhsa_exception_fp_ieee_invalid_op 0
		.amdhsa_exception_fp_denorm_src 0
		.amdhsa_exception_fp_ieee_div_zero 0
		.amdhsa_exception_fp_ieee_overflow 0
		.amdhsa_exception_fp_ieee_underflow 0
		.amdhsa_exception_fp_ieee_inexact 0
		.amdhsa_exception_int_div_zero 0
	.end_amdhsa_kernel
	.text
.Lfunc_end0:
	.size	fft_rtc_back_len616_factors_11_7_8_wgs_88_tpt_88_sp_ip_CI_unitstride_sbrr_C2R_dirReg, .Lfunc_end0-fft_rtc_back_len616_factors_11_7_8_wgs_88_tpt_88_sp_ip_CI_unitstride_sbrr_C2R_dirReg
                                        ; -- End function
	.section	.AMDGPU.csdata,"",@progbits
; Kernel info:
; codeLenInByte = 6052
; NumSgprs: 26
; NumVgprs: 69
; ScratchSize: 0
; MemoryBound: 0
; FloatMode: 240
; IeeeMode: 1
; LDSByteSize: 0 bytes/workgroup (compile time only)
; SGPRBlocks: 3
; VGPRBlocks: 17
; NumSGPRsForWavesPerEU: 26
; NumVGPRsForWavesPerEU: 69
; Occupancy: 3
; WaveLimiterHint : 1
; COMPUTE_PGM_RSRC2:SCRATCH_EN: 0
; COMPUTE_PGM_RSRC2:USER_SGPR: 6
; COMPUTE_PGM_RSRC2:TRAP_HANDLER: 0
; COMPUTE_PGM_RSRC2:TGID_X_EN: 1
; COMPUTE_PGM_RSRC2:TGID_Y_EN: 0
; COMPUTE_PGM_RSRC2:TGID_Z_EN: 0
; COMPUTE_PGM_RSRC2:TIDIG_COMP_CNT: 0
	.type	__hip_cuid_77fa269b4debbf44,@object ; @__hip_cuid_77fa269b4debbf44
	.section	.bss,"aw",@nobits
	.globl	__hip_cuid_77fa269b4debbf44
__hip_cuid_77fa269b4debbf44:
	.byte	0                               ; 0x0
	.size	__hip_cuid_77fa269b4debbf44, 1

	.ident	"AMD clang version 19.0.0git (https://github.com/RadeonOpenCompute/llvm-project roc-6.4.0 25133 c7fe45cf4b819c5991fe208aaa96edf142730f1d)"
	.section	".note.GNU-stack","",@progbits
	.addrsig
	.addrsig_sym __hip_cuid_77fa269b4debbf44
	.amdgpu_metadata
---
amdhsa.kernels:
  - .args:
      - .actual_access:  read_only
        .address_space:  global
        .offset:         0
        .size:           8
        .value_kind:     global_buffer
      - .offset:         8
        .size:           8
        .value_kind:     by_value
      - .actual_access:  read_only
        .address_space:  global
        .offset:         16
        .size:           8
        .value_kind:     global_buffer
      - .actual_access:  read_only
        .address_space:  global
        .offset:         24
        .size:           8
        .value_kind:     global_buffer
      - .offset:         32
        .size:           8
        .value_kind:     by_value
      - .actual_access:  read_only
        .address_space:  global
        .offset:         40
        .size:           8
        .value_kind:     global_buffer
      - .actual_access:  read_only
        .address_space:  global
        .offset:         48
        .size:           8
        .value_kind:     global_buffer
      - .offset:         56
        .size:           4
        .value_kind:     by_value
      - .actual_access:  read_only
        .address_space:  global
        .offset:         64
        .size:           8
        .value_kind:     global_buffer
      - .actual_access:  read_only
        .address_space:  global
        .offset:         72
        .size:           8
        .value_kind:     global_buffer
      - .address_space:  global
        .offset:         80
        .size:           8
        .value_kind:     global_buffer
    .group_segment_fixed_size: 0
    .kernarg_segment_align: 8
    .kernarg_segment_size: 88
    .language:       OpenCL C
    .language_version:
      - 2
      - 0
    .max_flat_workgroup_size: 88
    .name:           fft_rtc_back_len616_factors_11_7_8_wgs_88_tpt_88_sp_ip_CI_unitstride_sbrr_C2R_dirReg
    .private_segment_fixed_size: 0
    .sgpr_count:     26
    .sgpr_spill_count: 0
    .symbol:         fft_rtc_back_len616_factors_11_7_8_wgs_88_tpt_88_sp_ip_CI_unitstride_sbrr_C2R_dirReg.kd
    .uniform_work_group_size: 1
    .uses_dynamic_stack: false
    .vgpr_count:     69
    .vgpr_spill_count: 0
    .wavefront_size: 64
amdhsa.target:   amdgcn-amd-amdhsa--gfx906
amdhsa.version:
  - 1
  - 2
...

	.end_amdgpu_metadata
